;; amdgpu-corpus repo=ROCm/rocFFT kind=compiled arch=gfx906 opt=O3
	.text
	.amdgcn_target "amdgcn-amd-amdhsa--gfx906"
	.amdhsa_code_object_version 6
	.protected	fft_rtc_fwd_len176_factors_11_16_wgs_64_tpt_16_halfLds_dp_op_CI_CI_sbrr_dirReg ; -- Begin function fft_rtc_fwd_len176_factors_11_16_wgs_64_tpt_16_halfLds_dp_op_CI_CI_sbrr_dirReg
	.globl	fft_rtc_fwd_len176_factors_11_16_wgs_64_tpt_16_halfLds_dp_op_CI_CI_sbrr_dirReg
	.p2align	8
	.type	fft_rtc_fwd_len176_factors_11_16_wgs_64_tpt_16_halfLds_dp_op_CI_CI_sbrr_dirReg,@function
fft_rtc_fwd_len176_factors_11_16_wgs_64_tpt_16_halfLds_dp_op_CI_CI_sbrr_dirReg: ; @fft_rtc_fwd_len176_factors_11_16_wgs_64_tpt_16_halfLds_dp_op_CI_CI_sbrr_dirReg
; %bb.0:
	s_load_dwordx4 s[16:19], s[4:5], 0x18
	s_load_dwordx4 s[12:15], s[4:5], 0x0
	;; [unrolled: 1-line block ×3, first 2 shown]
	v_lshrrev_b32_e32 v32, 4, v0
	v_mov_b32_e32 v1, 0
	s_waitcnt lgkmcnt(0)
	s_load_dwordx2 s[2:3], s[16:17], 0x0
	s_load_dwordx2 s[20:21], s[18:19], 0x0
	v_cmp_lt_u64_e64 s[0:1], s[14:15], 2
	v_mov_b32_e32 v4, 0
	v_lshl_or_b32 v6, s6, 2, v32
	v_mov_b32_e32 v7, v1
	s_and_b64 vcc, exec, s[0:1]
	v_mov_b32_e32 v5, 0
	s_cbranch_vccnz .LBB0_8
; %bb.1:
	s_load_dwordx2 s[0:1], s[4:5], 0x10
	s_add_u32 s6, s18, 8
	s_addc_u32 s7, s19, 0
	s_add_u32 s22, s16, 8
	v_mov_b32_e32 v4, 0
	s_addc_u32 s23, s17, 0
	v_mov_b32_e32 v5, 0
	s_waitcnt lgkmcnt(0)
	s_add_u32 s24, s0, 8
	v_mov_b32_e32 v57, v5
	s_addc_u32 s25, s1, 0
	s_mov_b64 s[26:27], 1
	v_mov_b32_e32 v56, v4
.LBB0_2:                                ; =>This Inner Loop Header: Depth=1
	s_load_dwordx2 s[28:29], s[24:25], 0x0
                                        ; implicit-def: $vgpr58_vgpr59
	s_waitcnt lgkmcnt(0)
	v_or_b32_e32 v2, s29, v7
	v_cmp_ne_u64_e32 vcc, 0, v[1:2]
	s_and_saveexec_b64 s[0:1], vcc
	s_xor_b64 s[30:31], exec, s[0:1]
	s_cbranch_execz .LBB0_4
; %bb.3:                                ;   in Loop: Header=BB0_2 Depth=1
	v_cvt_f32_u32_e32 v2, s28
	v_cvt_f32_u32_e32 v3, s29
	s_sub_u32 s0, 0, s28
	s_subb_u32 s1, 0, s29
	v_mac_f32_e32 v2, 0x4f800000, v3
	v_rcp_f32_e32 v2, v2
	v_mul_f32_e32 v2, 0x5f7ffffc, v2
	v_mul_f32_e32 v3, 0x2f800000, v2
	v_trunc_f32_e32 v3, v3
	v_mac_f32_e32 v2, 0xcf800000, v3
	v_cvt_u32_f32_e32 v3, v3
	v_cvt_u32_f32_e32 v2, v2
	v_mul_lo_u32 v8, s0, v3
	v_mul_hi_u32 v9, s0, v2
	v_mul_lo_u32 v11, s1, v2
	v_mul_lo_u32 v10, s0, v2
	v_add_u32_e32 v8, v9, v8
	v_add_u32_e32 v8, v8, v11
	v_mul_hi_u32 v9, v2, v10
	v_mul_lo_u32 v11, v2, v8
	v_mul_hi_u32 v13, v2, v8
	v_mul_hi_u32 v12, v3, v10
	v_mul_lo_u32 v10, v3, v10
	v_mul_hi_u32 v14, v3, v8
	v_add_co_u32_e32 v9, vcc, v9, v11
	v_addc_co_u32_e32 v11, vcc, 0, v13, vcc
	v_mul_lo_u32 v8, v3, v8
	v_add_co_u32_e32 v9, vcc, v9, v10
	v_addc_co_u32_e32 v9, vcc, v11, v12, vcc
	v_addc_co_u32_e32 v10, vcc, 0, v14, vcc
	v_add_co_u32_e32 v8, vcc, v9, v8
	v_addc_co_u32_e32 v9, vcc, 0, v10, vcc
	v_add_co_u32_e32 v2, vcc, v2, v8
	v_addc_co_u32_e32 v3, vcc, v3, v9, vcc
	v_mul_lo_u32 v8, s0, v3
	v_mul_hi_u32 v9, s0, v2
	v_mul_lo_u32 v10, s1, v2
	v_mul_lo_u32 v11, s0, v2
	v_add_u32_e32 v8, v9, v8
	v_add_u32_e32 v8, v8, v10
	v_mul_lo_u32 v12, v2, v8
	v_mul_hi_u32 v13, v2, v11
	v_mul_hi_u32 v14, v2, v8
	;; [unrolled: 1-line block ×3, first 2 shown]
	v_mul_lo_u32 v11, v3, v11
	v_mul_hi_u32 v9, v3, v8
	v_add_co_u32_e32 v12, vcc, v13, v12
	v_addc_co_u32_e32 v13, vcc, 0, v14, vcc
	v_mul_lo_u32 v8, v3, v8
	v_add_co_u32_e32 v11, vcc, v12, v11
	v_addc_co_u32_e32 v10, vcc, v13, v10, vcc
	v_addc_co_u32_e32 v9, vcc, 0, v9, vcc
	v_add_co_u32_e32 v8, vcc, v10, v8
	v_addc_co_u32_e32 v9, vcc, 0, v9, vcc
	v_add_co_u32_e32 v8, vcc, v2, v8
	v_addc_co_u32_e32 v9, vcc, v3, v9, vcc
	v_mad_u64_u32 v[2:3], s[0:1], v6, v9, 0
	v_mul_hi_u32 v10, v6, v8
	v_add_co_u32_e32 v10, vcc, v10, v2
	v_addc_co_u32_e32 v11, vcc, 0, v3, vcc
	v_mad_u64_u32 v[2:3], s[0:1], v7, v8, 0
	v_mad_u64_u32 v[8:9], s[0:1], v7, v9, 0
	v_add_co_u32_e32 v2, vcc, v10, v2
	v_addc_co_u32_e32 v2, vcc, v11, v3, vcc
	v_addc_co_u32_e32 v3, vcc, 0, v9, vcc
	v_add_co_u32_e32 v8, vcc, v2, v8
	v_addc_co_u32_e32 v9, vcc, 0, v3, vcc
	v_mul_lo_u32 v10, s29, v8
	v_mul_lo_u32 v11, s28, v9
	v_mad_u64_u32 v[2:3], s[0:1], s28, v8, 0
	v_add3_u32 v3, v3, v11, v10
	v_sub_u32_e32 v10, v7, v3
	v_mov_b32_e32 v11, s29
	v_sub_co_u32_e32 v2, vcc, v6, v2
	v_subb_co_u32_e64 v10, s[0:1], v10, v11, vcc
	v_subrev_co_u32_e64 v11, s[0:1], s28, v2
	v_subbrev_co_u32_e64 v10, s[0:1], 0, v10, s[0:1]
	v_cmp_le_u32_e64 s[0:1], s29, v10
	v_cndmask_b32_e64 v12, 0, -1, s[0:1]
	v_cmp_le_u32_e64 s[0:1], s28, v11
	v_cndmask_b32_e64 v11, 0, -1, s[0:1]
	v_cmp_eq_u32_e64 s[0:1], s29, v10
	v_cndmask_b32_e64 v10, v12, v11, s[0:1]
	v_add_co_u32_e64 v11, s[0:1], 2, v8
	v_addc_co_u32_e64 v12, s[0:1], 0, v9, s[0:1]
	v_add_co_u32_e64 v13, s[0:1], 1, v8
	v_addc_co_u32_e64 v14, s[0:1], 0, v9, s[0:1]
	v_subb_co_u32_e32 v3, vcc, v7, v3, vcc
	v_cmp_ne_u32_e64 s[0:1], 0, v10
	v_cmp_le_u32_e32 vcc, s29, v3
	v_cndmask_b32_e64 v10, v14, v12, s[0:1]
	v_cndmask_b32_e64 v12, 0, -1, vcc
	v_cmp_le_u32_e32 vcc, s28, v2
	v_cndmask_b32_e64 v2, 0, -1, vcc
	v_cmp_eq_u32_e32 vcc, s29, v3
	v_cndmask_b32_e32 v2, v12, v2, vcc
	v_cmp_ne_u32_e32 vcc, 0, v2
	v_cndmask_b32_e64 v2, v13, v11, s[0:1]
	v_cndmask_b32_e32 v59, v9, v10, vcc
	v_cndmask_b32_e32 v58, v8, v2, vcc
.LBB0_4:                                ;   in Loop: Header=BB0_2 Depth=1
	s_andn2_saveexec_b64 s[0:1], s[30:31]
	s_cbranch_execz .LBB0_6
; %bb.5:                                ;   in Loop: Header=BB0_2 Depth=1
	v_cvt_f32_u32_e32 v2, s28
	s_sub_i32 s30, 0, s28
	v_mov_b32_e32 v59, v1
	v_rcp_iflag_f32_e32 v2, v2
	v_mul_f32_e32 v2, 0x4f7ffffe, v2
	v_cvt_u32_f32_e32 v2, v2
	v_mul_lo_u32 v3, s30, v2
	v_mul_hi_u32 v3, v2, v3
	v_add_u32_e32 v2, v2, v3
	v_mul_hi_u32 v2, v6, v2
	v_mul_lo_u32 v3, v2, s28
	v_add_u32_e32 v8, 1, v2
	v_sub_u32_e32 v3, v6, v3
	v_subrev_u32_e32 v9, s28, v3
	v_cmp_le_u32_e32 vcc, s28, v3
	v_cndmask_b32_e32 v3, v3, v9, vcc
	v_cndmask_b32_e32 v2, v2, v8, vcc
	v_add_u32_e32 v8, 1, v2
	v_cmp_le_u32_e32 vcc, s28, v3
	v_cndmask_b32_e32 v58, v2, v8, vcc
.LBB0_6:                                ;   in Loop: Header=BB0_2 Depth=1
	s_or_b64 exec, exec, s[0:1]
	v_mul_lo_u32 v8, v59, s28
	v_mul_lo_u32 v9, v58, s29
	v_mad_u64_u32 v[2:3], s[0:1], v58, s28, 0
	s_load_dwordx2 s[0:1], s[22:23], 0x0
	s_load_dwordx2 s[28:29], s[6:7], 0x0
	v_add3_u32 v3, v3, v9, v8
	v_sub_co_u32_e32 v2, vcc, v6, v2
	v_subb_co_u32_e32 v3, vcc, v7, v3, vcc
	s_waitcnt lgkmcnt(0)
	v_mul_lo_u32 v6, s0, v3
	v_mul_lo_u32 v7, s1, v2
	v_mad_u64_u32 v[4:5], s[0:1], s0, v2, v[4:5]
	v_mul_lo_u32 v3, s28, v3
	v_mul_lo_u32 v8, s29, v2
	v_mad_u64_u32 v[56:57], s[0:1], s28, v2, v[56:57]
	s_add_u32 s26, s26, 1
	s_addc_u32 s27, s27, 0
	s_add_u32 s6, s6, 8
	v_add3_u32 v57, v8, v57, v3
	s_addc_u32 s7, s7, 0
	v_mov_b32_e32 v2, s14
	s_add_u32 s22, s22, 8
	v_mov_b32_e32 v3, s15
	s_addc_u32 s23, s23, 0
	v_cmp_ge_u64_e32 vcc, s[26:27], v[2:3]
	s_add_u32 s24, s24, 8
	v_add3_u32 v5, v7, v5, v6
	s_addc_u32 s25, s25, 0
	s_cbranch_vccnz .LBB0_9
; %bb.7:                                ;   in Loop: Header=BB0_2 Depth=1
	v_mov_b32_e32 v6, v58
	v_mov_b32_e32 v7, v59
	s_branch .LBB0_2
.LBB0_8:
	v_mov_b32_e32 v57, v5
	v_mov_b32_e32 v59, v7
	;; [unrolled: 1-line block ×4, first 2 shown]
.LBB0_9:
	s_load_dwordx2 s[0:1], s[4:5], 0x28
	s_lshl_b64 s[14:15], s[14:15], 3
	s_add_u32 s4, s18, s14
	s_addc_u32 s5, s19, s15
	v_and_b32_e32 v78, 15, v0
	s_waitcnt lgkmcnt(0)
	v_cmp_gt_u64_e32 vcc, s[0:1], v[58:59]
	v_cmp_le_u64_e64 s[0:1], s[0:1], v[58:59]
	s_and_saveexec_b64 s[6:7], s[0:1]
	s_xor_b64 s[0:1], exec, s[6:7]
; %bb.10:
	v_and_b32_e32 v78, 15, v0
                                        ; implicit-def: $vgpr4_vgpr5
; %bb.11:
	s_or_saveexec_b64 s[6:7], s[0:1]
                                        ; implicit-def: $vgpr54_vgpr55
                                        ; implicit-def: $vgpr50_vgpr51
                                        ; implicit-def: $vgpr46_vgpr47
                                        ; implicit-def: $vgpr10_vgpr11
                                        ; implicit-def: $vgpr2_vgpr3
                                        ; implicit-def: $vgpr14_vgpr15
                                        ; implicit-def: $vgpr30_vgpr31
                                        ; implicit-def: $vgpr18_vgpr19
                                        ; implicit-def: $vgpr22_vgpr23
                                        ; implicit-def: $vgpr6_vgpr7
                                        ; implicit-def: $vgpr26_vgpr27
	s_xor_b64 exec, exec, s[6:7]
	s_cbranch_execz .LBB0_13
; %bb.12:
	s_add_u32 s0, s16, s14
	s_addc_u32 s1, s17, s15
	s_load_dwordx2 s[0:1], s[0:1], 0x0
	v_mad_u64_u32 v[0:1], s[14:15], s2, v78, 0
	s_waitcnt lgkmcnt(0)
	v_mul_lo_u32 v8, s1, v58
	v_mul_lo_u32 v9, s0, v59
	v_mad_u64_u32 v[2:3], s[0:1], s0, v58, 0
	v_mad_u64_u32 v[6:7], s[0:1], s3, v78, v[1:2]
	v_add3_u32 v3, v3, v9, v8
	v_lshlrev_b64 v[2:3], 4, v[2:3]
	v_mov_b32_e32 v1, v6
	v_mov_b32_e32 v6, s9
	v_add_co_u32_e64 v7, s[0:1], s8, v2
	v_or_b32_e32 v8, 16, v78
	v_addc_co_u32_e64 v6, s[0:1], v6, v3, s[0:1]
	v_lshlrev_b64 v[2:3], 4, v[4:5]
	v_mad_u64_u32 v[4:5], s[0:1], s2, v8, 0
	v_add_co_u32_e64 v9, s[0:1], v7, v2
	v_mov_b32_e32 v2, v5
	v_addc_co_u32_e64 v10, s[0:1], v6, v3, s[0:1]
	v_mad_u64_u32 v[2:3], s[0:1], s3, v8, v[2:3]
	v_or_b32_e32 v3, 32, v78
	v_mad_u64_u32 v[6:7], s[0:1], s2, v3, 0
	v_lshlrev_b64 v[0:1], 4, v[0:1]
	v_mov_b32_e32 v5, v2
	v_add_co_u32_e64 v33, s[0:1], v9, v0
	v_mov_b32_e32 v2, v7
	v_addc_co_u32_e64 v34, s[0:1], v10, v1, s[0:1]
	v_lshlrev_b64 v[0:1], 4, v[4:5]
	v_mad_u64_u32 v[2:3], s[0:1], s3, v3, v[2:3]
	v_or_b32_e32 v5, 48, v78
	v_mad_u64_u32 v[3:4], s[0:1], s2, v5, 0
	v_add_co_u32_e64 v35, s[0:1], v9, v0
	v_mov_b32_e32 v7, v2
	v_mov_b32_e32 v2, v4
	v_addc_co_u32_e64 v36, s[0:1], v10, v1, s[0:1]
	v_lshlrev_b64 v[0:1], 4, v[6:7]
	v_mad_u64_u32 v[4:5], s[0:1], s3, v5, v[2:3]
	v_or_b32_e32 v7, 64, v78
	v_mad_u64_u32 v[5:6], s[0:1], s2, v7, 0
	v_add_co_u32_e64 v37, s[0:1], v9, v0
	v_mov_b32_e32 v2, v6
	v_addc_co_u32_e64 v38, s[0:1], v10, v1, s[0:1]
	v_lshlrev_b64 v[0:1], 4, v[3:4]
	v_mad_u64_u32 v[2:3], s[0:1], s3, v7, v[2:3]
	v_or_b32_e32 v7, 0x50, v78
	v_mad_u64_u32 v[3:4], s[0:1], s2, v7, 0
	v_add_co_u32_e64 v39, s[0:1], v9, v0
	v_mov_b32_e32 v6, v2
	v_mov_b32_e32 v2, v4
	v_addc_co_u32_e64 v40, s[0:1], v10, v1, s[0:1]
	v_lshlrev_b64 v[0:1], 4, v[5:6]
	v_mad_u64_u32 v[4:5], s[0:1], s3, v7, v[2:3]
	v_or_b32_e32 v7, 0x60, v78
	v_mad_u64_u32 v[5:6], s[0:1], s2, v7, 0
	;; [unrolled: 15-line block ×4, first 2 shown]
	v_add_co_u32_e64 v66, s[0:1], v9, v0
	v_mov_b32_e32 v2, v6
	v_addc_co_u32_e64 v67, s[0:1], v10, v1, s[0:1]
	v_lshlrev_b64 v[0:1], 4, v[3:4]
	v_mad_u64_u32 v[2:3], s[0:1], s3, v7, v[2:3]
	v_add_co_u32_e64 v68, s[0:1], v9, v0
	v_mov_b32_e32 v6, v2
	v_addc_co_u32_e64 v69, s[0:1], v10, v1, s[0:1]
	v_lshlrev_b64 v[0:1], 4, v[5:6]
	v_add_co_u32_e64 v70, s[0:1], v9, v0
	v_addc_co_u32_e64 v71, s[0:1], v10, v1, s[0:1]
	global_load_dwordx4 v[24:27], v[33:34], off
	global_load_dwordx4 v[52:55], v[35:36], off
	;; [unrolled: 1-line block ×11, first 2 shown]
.LBB0_13:
	s_or_b64 exec, exec, s[6:7]
	s_waitcnt vmcnt(9)
	v_add_f64 v[33:34], v[52:53], v[24:25]
	s_waitcnt vmcnt(0)
	v_add_f64 v[35:36], v[52:53], v[16:17]
	s_mov_b32 s2, 0x8764f0ba
	s_mov_b32 s3, 0x3feaeb8c
	v_add_f64 v[37:38], v[54:55], -v[18:19]
	v_add_f64 v[39:40], v[48:49], v[20:21]
	s_mov_b32 s8, 0xf8bb580b
	s_mov_b32 s6, 0xd9c712b6
	v_add_f64 v[33:34], v[48:49], v[33:34]
	v_mul_f64 v[60:61], v[35:36], s[2:3]
	s_mov_b32 s14, 0x640f44db
	s_mov_b32 s18, 0x7f775887
	;; [unrolled: 1-line block ×6, first 2 shown]
	v_add_f64 v[33:34], v[44:45], v[33:34]
	s_mov_b32 s19, 0xbfe4f49e
	s_mov_b32 s27, 0xbfeeb42a
	v_add_f64 v[41:42], v[50:51], -v[22:23]
	v_mul_f64 v[62:63], v[35:36], s[6:7]
	v_mul_f64 v[64:65], v[35:36], s[14:15]
	;; [unrolled: 1-line block ×4, first 2 shown]
	v_add_f64 v[33:34], v[8:9], v[33:34]
	v_mul_f64 v[68:69], v[39:40], s[6:7]
	v_fma_f64 v[72:73], v[37:38], s[8:9], v[60:61]
	s_mov_b32 s16, 0x8eee2c13
	s_mov_b32 s30, 0x43842ef
	s_mov_b32 s0, 0xbb3a28a1
	s_mov_b32 s38, 0xfd768dbf
	s_mov_b32 s25, 0xbfe14ced
	v_add_f64 v[33:34], v[0:1], v[33:34]
	s_mov_b32 s17, 0x3fed1bb4
	s_mov_b32 s37, 0xbfed1bb4
	;; [unrolled: 1-line block ×7, first 2 shown]
	v_add_f64 v[33:34], v[4:5], v[33:34]
	s_mov_b32 s35, 0xbfd207e7
	s_mov_b32 s24, s8
	;; [unrolled: 1-line block ×6, first 2 shown]
	v_mul_f64 v[70:71], v[39:40], s[18:19]
	v_add_f64 v[33:34], v[12:13], v[33:34]
	v_fma_f64 v[60:61], v[37:38], s[24:25], v[60:61]
	v_fma_f64 v[74:75], v[37:38], s[16:17], v[62:63]
	;; [unrolled: 1-line block ×7, first 2 shown]
	v_add_f64 v[33:34], v[28:29], v[33:34]
	v_fma_f64 v[81:82], v[37:38], s[38:39], v[35:36]
	v_fma_f64 v[35:36], v[37:38], s[34:35], v[35:36]
	;; [unrolled: 1-line block ×3, first 2 shown]
	v_add_f64 v[72:73], v[72:73], v[24:25]
	v_fma_f64 v[68:69], v[41:42], s[36:37], v[68:69]
	v_add_f64 v[83:84], v[60:61], v[24:25]
	v_add_f64 v[74:75], v[74:75], v[24:25]
	;; [unrolled: 1-line block ×8, first 2 shown]
	v_fma_f64 v[85:86], v[41:42], s[0:1], v[70:71]
	v_add_f64 v[68:69], v[68:69], v[83:84]
	v_add_f64 v[60:61], v[16:17], v[33:34]
	;; [unrolled: 1-line block ×3, first 2 shown]
	v_mul_f64 v[81:82], v[39:40], s[26:27]
	v_add_f64 v[24:25], v[35:36], v[24:25]
	v_add_f64 v[35:36], v[37:38], v[72:73]
	v_fma_f64 v[37:38], v[41:42], s[28:29], v[70:71]
	v_mul_f64 v[70:71], v[39:40], s[14:15]
	v_add_f64 v[72:73], v[44:45], v[28:29]
	v_add_f64 v[74:75], v[85:86], v[74:75]
	v_mul_f64 v[39:40], v[39:40], s[2:3]
	v_fma_f64 v[83:84], v[41:42], s[34:35], v[81:82]
	v_fma_f64 v[81:82], v[41:42], s[38:39], v[81:82]
	v_add_f64 v[85:86], v[46:47], -v[30:31]
	v_add_f64 v[37:38], v[37:38], v[62:63]
	v_fma_f64 v[62:63], v[41:42], s[22:23], v[70:71]
	v_mul_f64 v[87:88], v[72:73], s[14:15]
	v_fma_f64 v[70:71], v[41:42], s[30:31], v[70:71]
	s_load_dwordx2 s[4:5], s[4:5], 0x0
	v_add_f64 v[76:77], v[83:84], v[76:77]
	v_fma_f64 v[83:84], v[41:42], s[24:25], v[39:40]
	v_add_f64 v[64:65], v[81:82], v[64:65]
	v_mul_f64 v[81:82], v[72:73], s[26:27]
	v_add_f64 v[62:63], v[62:63], v[79:80]
	v_fma_f64 v[39:40], v[41:42], s[8:9], v[39:40]
	v_fma_f64 v[41:42], v[85:86], s[30:31], v[87:88]
	;; [unrolled: 1-line block ×3, first 2 shown]
	v_add_f64 v[66:67], v[70:71], v[66:67]
	v_mul_f64 v[70:71], v[72:73], s[6:7]
	v_add_f64 v[33:34], v[83:84], v[33:34]
	v_fma_f64 v[83:84], v[85:86], s[34:35], v[81:82]
	v_fma_f64 v[81:82], v[85:86], s[38:39], v[81:82]
	v_add_f64 v[24:25], v[39:40], v[24:25]
	v_add_f64 v[35:36], v[41:42], v[35:36]
	;; [unrolled: 1-line block ×4, first 2 shown]
	v_fma_f64 v[79:80], v[85:86], s[36:37], v[70:71]
	v_mul_f64 v[68:69], v[72:73], s[2:3]
	v_add_f64 v[74:75], v[83:84], v[74:75]
	v_add_f64 v[37:38], v[81:82], v[37:38]
	v_mul_f64 v[72:73], v[72:73], s[18:19]
	v_fma_f64 v[70:71], v[85:86], s[16:17], v[70:71]
	v_add_f64 v[81:82], v[10:11], -v[14:15]
	v_mul_f64 v[83:84], v[41:42], s[18:19]
	v_add_f64 v[76:77], v[79:80], v[76:77]
	v_mul_f64 v[79:80], v[41:42], s[14:15]
	v_fma_f64 v[87:88], v[85:86], s[8:9], v[68:69]
	v_fma_f64 v[68:69], v[85:86], s[24:25], v[68:69]
	;; [unrolled: 1-line block ×3, first 2 shown]
	v_add_f64 v[64:65], v[70:71], v[64:65]
	v_fma_f64 v[70:71], v[85:86], s[28:29], v[72:73]
	v_fma_f64 v[72:73], v[81:82], s[0:1], v[83:84]
	v_fma_f64 v[83:84], v[81:82], s[28:29], v[83:84]
	v_fma_f64 v[85:86], v[81:82], s[22:23], v[79:80]
	v_fma_f64 v[79:80], v[81:82], s[30:31], v[79:80]
	v_add_f64 v[66:67], v[68:69], v[66:67]
	v_mul_f64 v[68:69], v[41:42], s[2:3]
	v_add_f64 v[62:63], v[87:88], v[62:63]
	v_add_f64 v[24:25], v[70:71], v[24:25]
	;; [unrolled: 1-line block ×3, first 2 shown]
	v_mul_f64 v[70:71], v[41:42], s[26:27]
	v_add_f64 v[72:73], v[85:86], v[74:75]
	v_add_f64 v[74:75], v[0:1], v[4:5]
	v_mul_f64 v[41:42], v[41:42], s[6:7]
	v_add_f64 v[33:34], v[89:90], v[33:34]
	v_add_f64 v[39:40], v[83:84], v[39:40]
	v_fma_f64 v[83:84], v[81:82], s[8:9], v[68:69]
	v_fma_f64 v[68:69], v[81:82], s[24:25], v[68:69]
	;; [unrolled: 1-line block ×4, first 2 shown]
	v_add_f64 v[87:88], v[2:3], -v[6:7]
	v_mul_f64 v[89:90], v[74:75], s[26:27]
	v_add_f64 v[37:38], v[79:80], v[37:38]
	v_fma_f64 v[79:80], v[81:82], s[36:37], v[41:42]
	v_add_f64 v[76:77], v[83:84], v[76:77]
	v_add_f64 v[68:69], v[68:69], v[64:65]
	v_fma_f64 v[41:42], v[81:82], s[16:17], v[41:42]
	v_add_f64 v[66:67], v[70:71], v[66:67]
	v_mul_f64 v[81:82], v[74:75], s[2:3]
	v_fma_f64 v[64:65], v[87:88], s[38:39], v[89:90]
	v_fma_f64 v[70:71], v[87:88], s[34:35], v[89:90]
	v_add_f64 v[33:34], v[79:80], v[33:34]
	v_mul_f64 v[79:80], v[74:75], s[18:19]
	v_mul_f64 v[83:84], v[74:75], s[6:7]
	;; [unrolled: 1-line block ×3, first 2 shown]
	v_add_f64 v[62:63], v[85:86], v[62:63]
	v_add_f64 v[85:86], v[41:42], v[24:25]
	;; [unrolled: 1-line block ×4, first 2 shown]
	v_fma_f64 v[35:36], v[87:88], s[24:25], v[81:82]
	v_fma_f64 v[39:40], v[87:88], s[8:9], v[81:82]
	;; [unrolled: 1-line block ×8, first 2 shown]
	v_add_f64 v[74:75], v[35:36], v[72:73]
	v_add_f64 v[40:41], v[39:40], v[37:38]
	;; [unrolled: 1-line block ×8, first 2 shown]
	s_movk_i32 s0, 0x58
	v_mul_u32_u24_e32 v32, 0xb0, v32
	v_mad_u32_u24 v34, v78, s0, 0
	v_lshl_add_u32 v79, v32, 3, v34
	v_cmp_gt_u32_e64 s[0:1], 11, v78
	v_lshlrev_b32_e32 v80, 3, v32
	v_lshlrev_b32_e32 v81, 3, v78
	ds_write2_b64 v79, v[60:61], v[24:25] offset1:1
	ds_write2_b64 v79, v[74:75], v[72:73] offset0:2 offset1:3
	ds_write2_b64 v79, v[64:65], v[62:63] offset0:4 offset1:5
	;; [unrolled: 1-line block ×4, first 2 shown]
	ds_write_b64 v79, v[42:43] offset:80
	s_waitcnt lgkmcnt(0)
	; wave barrier
	s_waitcnt lgkmcnt(0)
                                        ; implicit-def: $vgpr36_vgpr37
                                        ; implicit-def: $vgpr32_vgpr33
                                        ; implicit-def: $vgpr68_vgpr69
	s_and_saveexec_b64 s[40:41], s[0:1]
	s_cbranch_execz .LBB0_15
; %bb.14:
	v_mul_i32_i24_e32 v25, 0xffffffb0, v78
	v_add3_u32 v24, 0, v80, v81
	v_add3_u32 v25, v34, v25, v80
	ds_read2_b64 v[62:65], v25 offset0:11 offset1:22
	ds_read2_b64 v[82:85], v25 offset0:33 offset1:44
	;; [unrolled: 1-line block ×7, first 2 shown]
	ds_read_b64 v[60:61], v24
	ds_read_b64 v[68:69], v25 offset:1320
	s_waitcnt lgkmcnt(0)
	v_mov_b32_e32 v24, v62
	v_mov_b32_e32 v75, v65
	;; [unrolled: 1-line block ×16, first 2 shown]
.LBB0_15:
	s_or_b64 exec, exec, s[40:41]
	v_add_f64 v[82:83], v[54:55], v[26:27]
	v_add_f64 v[28:29], v[44:45], -v[28:29]
	v_add_f64 v[16:17], v[52:53], -v[16:17]
	v_add_f64 v[52:53], v[54:55], v[18:19]
	v_add_f64 v[54:55], v[50:51], v[22:23]
	v_add_f64 v[20:21], v[48:49], -v[20:21]
	v_add_f64 v[48:49], v[46:47], v[30:31]
	v_add_f64 v[8:9], v[8:9], -v[12:13]
	v_add_f64 v[44:45], v[50:51], v[82:83]
	v_mul_f64 v[94:95], v[28:29], s[22:23]
	v_mul_f64 v[50:51], v[16:17], s[24:25]
	;; [unrolled: 1-line block ×7, first 2 shown]
	v_add_f64 v[44:45], v[46:47], v[44:45]
	v_mul_f64 v[90:91], v[20:21], s[28:29]
	v_fma_f64 v[100:101], v[52:53], s[2:3], v[50:51]
	v_fma_f64 v[50:51], v[52:53], s[2:3], -v[50:51]
	v_fma_f64 v[102:103], v[52:53], s[6:7], v[82:83]
	v_mul_f64 v[92:93], v[20:21], s[38:39]
	v_mul_f64 v[46:47], v[20:21], s[30:31]
	;; [unrolled: 1-line block ×3, first 2 shown]
	v_add_f64 v[44:45], v[10:11], v[44:45]
	v_mul_f64 v[96:97], v[28:29], s[38:39]
	v_fma_f64 v[82:83], v[52:53], s[6:7], -v[82:83]
	v_fma_f64 v[104:105], v[52:53], s[14:15], v[84:85]
	v_fma_f64 v[84:85], v[52:53], s[14:15], -v[84:85]
	v_fma_f64 v[106:107], v[52:53], s[18:19], v[86:87]
	;; [unrolled: 2-line block ×3, first 2 shown]
	v_add_f64 v[44:45], v[2:3], v[44:45]
	v_fma_f64 v[16:17], v[52:53], s[26:27], -v[16:17]
	v_fma_f64 v[52:53], v[54:55], s[6:7], v[88:89]
	v_fma_f64 v[88:89], v[54:55], s[6:7], -v[88:89]
	v_fma_f64 v[110:111], v[54:55], s[18:19], v[90:91]
	v_add_f64 v[100:101], v[100:101], v[26:27]
	v_add_f64 v[50:51], v[50:51], v[26:27]
	;; [unrolled: 1-line block ×4, first 2 shown]
	v_mul_f64 v[98:99], v[28:29], s[16:17]
	v_fma_f64 v[90:91], v[54:55], s[18:19], -v[90:91]
	v_fma_f64 v[112:113], v[54:55], s[26:27], v[92:93]
	v_fma_f64 v[92:93], v[54:55], s[26:27], -v[92:93]
	v_fma_f64 v[114:115], v[54:55], s[14:15], v[46:47]
	;; [unrolled: 2-line block ×3, first 2 shown]
	v_add_f64 v[44:45], v[14:15], v[44:45]
	v_fma_f64 v[20:21], v[54:55], s[2:3], -v[20:21]
	v_fma_f64 v[54:55], v[48:49], s[14:15], v[94:95]
	v_fma_f64 v[94:95], v[48:49], s[14:15], -v[94:95]
	v_fma_f64 v[118:119], v[48:49], s[26:27], v[96:97]
	v_add_f64 v[82:83], v[82:83], v[26:27]
	v_add_f64 v[104:105], v[104:105], v[26:27]
	;; [unrolled: 1-line block ×16, first 2 shown]
	v_mul_f64 v[12:13], v[28:29], s[24:25]
	v_mul_f64 v[28:29], v[28:29], s[28:29]
	v_add_f64 v[10:11], v[10:11], v[14:15]
	v_add_f64 v[16:17], v[18:19], v[22:23]
	;; [unrolled: 1-line block ×4, first 2 shown]
	v_fma_f64 v[26:27], v[48:49], s[6:7], v[98:99]
	v_add_f64 v[50:51], v[118:119], v[52:53]
	v_fma_f64 v[52:53], v[48:49], s[6:7], -v[98:99]
	v_mul_f64 v[14:15], v[8:9], s[28:29]
	v_fma_f64 v[96:97], v[48:49], s[26:27], -v[96:97]
	v_add_f64 v[46:47], v[46:47], v[86:87]
	v_fma_f64 v[54:55], v[48:49], s[2:3], v[12:13]
	v_fma_f64 v[12:13], v[48:49], s[2:3], -v[12:13]
	v_add_f64 v[26:27], v[26:27], v[82:83]
	v_mul_f64 v[82:83], v[8:9], s[30:31]
	v_fma_f64 v[88:89], v[48:49], s[18:19], v[28:29]
	v_fma_f64 v[28:29], v[48:49], s[18:19], -v[28:29]
	v_add_f64 v[48:49], v[52:53], v[84:85]
	v_fma_f64 v[52:53], v[10:11], s[18:19], v[14:15]
	v_add_f64 v[44:45], v[114:115], v[44:45]
	v_fma_f64 v[14:15], v[10:11], s[18:19], -v[14:15]
	v_add_f64 v[12:13], v[12:13], v[46:47]
	v_fma_f64 v[46:47], v[10:11], s[14:15], v[82:83]
	v_add_f64 v[0:1], v[0:1], -v[4:5]
	v_add_f64 v[20:21], v[28:29], v[20:21]
	v_mul_f64 v[28:29], v[8:9], s[24:25]
	v_add_f64 v[18:19], v[52:53], v[18:19]
	v_mul_f64 v[52:53], v[8:9], s[34:35]
	v_add_f64 v[86:87], v[116:117], v[106:107]
	v_add_f64 v[30:31], v[96:97], v[30:31]
	;; [unrolled: 1-line block ×5, first 2 shown]
	v_fma_f64 v[14:15], v[10:11], s[14:15], -v[82:83]
	v_mul_f64 v[8:9], v[8:9], s[16:17]
	v_fma_f64 v[46:47], v[10:11], s[2:3], v[28:29]
	v_fma_f64 v[28:29], v[10:11], s[2:3], -v[28:29]
	v_fma_f64 v[50:51], v[10:11], s[26:27], v[52:53]
	v_add_f64 v[2:3], v[2:3], v[6:7]
	v_mul_f64 v[6:7], v[0:1], s[34:35]
	v_fma_f64 v[52:53], v[10:11], s[26:27], -v[52:53]
	v_add_f64 v[54:55], v[88:89], v[86:87]
	v_add_f64 v[14:15], v[14:15], v[30:31]
	v_fma_f64 v[30:31], v[10:11], s[6:7], v[8:9]
	v_add_f64 v[26:27], v[46:47], v[26:27]
	v_add_f64 v[46:47], v[28:29], v[48:49]
	v_fma_f64 v[8:9], v[10:11], s[6:7], -v[8:9]
	v_add_f64 v[10:11], v[50:51], v[44:45]
	v_fma_f64 v[28:29], v[2:3], s[26:27], v[6:7]
	v_add_f64 v[48:49], v[52:53], v[12:13]
	v_mul_f64 v[12:13], v[0:1], s[8:9]
	v_mul_f64 v[44:45], v[0:1], s[28:29]
	;; [unrolled: 1-line block ×4, first 2 shown]
	v_add_f64 v[30:31], v[30:31], v[54:55]
	v_add_f64 v[52:53], v[8:9], v[20:21]
	;; [unrolled: 1-line block ×3, first 2 shown]
	v_fma_f64 v[6:7], v[2:3], s[26:27], -v[6:7]
	v_fma_f64 v[18:19], v[2:3], s[2:3], v[12:13]
	v_fma_f64 v[12:13], v[2:3], s[2:3], -v[12:13]
	v_fma_f64 v[20:21], v[2:3], s[18:19], v[44:45]
	v_fma_f64 v[54:55], v[2:3], s[6:7], v[50:51]
	v_fma_f64 v[50:51], v[2:3], s[6:7], -v[50:51]
	v_fma_f64 v[82:83], v[2:3], s[14:15], v[0:1]
	v_fma_f64 v[0:1], v[2:3], s[14:15], -v[0:1]
	v_fma_f64 v[2:3], v[2:3], s[18:19], -v[44:45]
	v_add_f64 v[44:45], v[18:19], v[4:5]
	v_add_f64 v[12:13], v[12:13], v[14:15]
	;; [unrolled: 1-line block ×9, first 2 shown]
	s_waitcnt lgkmcnt(0)
	; wave barrier
	s_waitcnt lgkmcnt(0)
	ds_write2_b64 v79, v[16:17], v[8:9] offset1:1
	ds_write2_b64 v79, v[44:45], v[28:29] offset0:2 offset1:3
	ds_write2_b64 v79, v[14:15], v[20:21] offset0:4 offset1:5
	;; [unrolled: 1-line block ×4, first 2 shown]
	ds_write_b64 v79, v[10:11] offset:80
	s_waitcnt lgkmcnt(0)
	; wave barrier
	s_waitcnt lgkmcnt(0)
                                        ; implicit-def: $vgpr0_vgpr1
                                        ; implicit-def: $vgpr4_vgpr5
                                        ; implicit-def: $vgpr22_vgpr23
	s_and_saveexec_b64 s[2:3], s[0:1]
	s_cbranch_execz .LBB0_17
; %bb.16:
	v_add3_u32 v13, 0, v81, v80
	v_add3_u32 v12, 0, v80, v81
	ds_read2_b64 v[46:49], v13 offset0:11 offset1:22
	ds_read2_b64 v[50:53], v13 offset0:33 offset1:44
	;; [unrolled: 1-line block ×7, first 2 shown]
	ds_read_b64 v[16:17], v12
	ds_read_b64 v[22:23], v13 offset:1320
	s_waitcnt lgkmcnt(4)
	v_mov_b32_e32 v13, v9
	v_mov_b32_e32 v20, v28
	;; [unrolled: 1-line block ×16, first 2 shown]
.LBB0_17:
	s_or_b64 exec, exec, s[2:3]
	v_cmp_gt_u32_e64 s[2:3], 11, v78
	s_and_b64 s[2:3], vcc, s[2:3]
	s_and_saveexec_b64 s[6:7], s[2:3]
	s_cbranch_execz .LBB0_19
; %bb.18:
	v_add_u32_e32 v46, -11, v78
	v_cndmask_b32_e64 v46, v46, v78, s[0:1]
	v_mul_i32_i24_e32 v46, 15, v46
	v_mov_b32_e32 v47, 0
	v_lshlrev_b64 v[46:47], 4, v[46:47]
	v_mov_b32_e32 v48, s13
	v_add_co_u32_e32 v119, vcc, s12, v46
	v_addc_co_u32_e32 v120, vcc, v48, v47, vcc
	global_load_dwordx4 v[46:49], v[119:120], off offset:16
	global_load_dwordx4 v[50:53], v[119:120], off offset:144
	;; [unrolled: 1-line block ×5, first 2 shown]
	global_load_dwordx4 v[91:94], v[119:120], off
	global_load_dwordx4 v[95:98], v[119:120], off offset:208
	global_load_dwordx4 v[99:102], v[119:120], off offset:48
	;; [unrolled: 1-line block ×5, first 2 shown]
	s_mov_b32 s6, 0xcf328d46
	s_mov_b32 s7, 0x3fed906b
	;; [unrolled: 1-line block ×8, first 2 shown]
	v_lshlrev_b64 v[56:57], 4, v[56:57]
	s_waitcnt vmcnt(10)
	v_mul_f64 v[54:55], v[44:45], v[48:49]
	v_mul_f64 v[48:49], v[74:75], v[48:49]
	v_fma_f64 v[74:75], v[74:75], v[46:47], -v[54:55]
	s_waitcnt vmcnt(9)
	v_mul_f64 v[54:55], v[10:11], v[52:53]
	v_fma_f64 v[121:122], v[44:45], v[46:47], v[48:49]
	v_mul_f64 v[48:49], v[42:43], v[52:53]
	global_load_dwordx4 v[44:47], v[119:120], off offset:112
	v_fma_f64 v[42:43], v[42:43], v[50:51], -v[54:55]
	global_load_dwordx4 v[52:55], v[119:120], off offset:192
	v_fma_f64 v[10:11], v[10:11], v[50:51], v[48:49]
	global_load_dwordx4 v[48:51], v[119:120], off offset:64
	global_load_dwordx4 v[115:118], v[119:120], off offset:224
	s_waitcnt vmcnt(12)
	v_mul_f64 v[119:120], v[30:31], v[79:80]
	v_mul_f64 v[30:31], v[30:31], v[81:82]
	v_add_f64 v[10:11], v[121:122], -v[10:11]
	v_fma_f64 v[81:82], v[76:77], v[81:82], v[119:120]
	v_fma_f64 v[30:31], v[76:77], v[79:80], -v[30:31]
	s_waitcnt vmcnt(11)
	v_mul_f64 v[76:77], v[28:29], v[85:86]
	v_mul_f64 v[79:80], v[72:73], v[85:86]
	v_mul_lo_u32 v119, s5, v58
	v_mul_lo_u32 v120, s4, v59
	v_mad_u64_u32 v[85:86], s[0:1], s4, v58, 0
	s_waitcnt vmcnt(8) lgkmcnt(2)
	v_mul_f64 v[58:59], v[6:7], v[95:96]
	v_mul_f64 v[6:7], v[6:7], v[97:98]
	v_fma_f64 v[72:73], v[72:73], v[83:84], -v[76:77]
	v_mul_f64 v[76:77], v[26:27], v[87:88]
	v_mul_f64 v[26:27], v[26:27], v[89:90]
	v_fma_f64 v[28:29], v[28:29], v[83:84], v[79:80]
	s_waitcnt vmcnt(6)
	v_mul_f64 v[79:80], v[0:1], v[105:106]
	v_mul_f64 v[83:84], v[14:15], v[101:102]
	v_fma_f64 v[58:59], v[34:35], v[97:98], v[58:59]
	v_fma_f64 v[6:7], v[34:35], v[95:96], -v[6:7]
	s_mov_b32 s4, 0x667f3bcd
	v_fma_f64 v[76:77], v[70:71], v[89:90], v[76:77]
	v_fma_f64 v[26:27], v[70:71], v[87:88], -v[26:27]
	v_mul_f64 v[70:71], v[36:37], v[105:106]
	s_waitcnt vmcnt(5)
	v_mul_f64 v[87:88], v[2:3], v[109:110]
	v_mul_f64 v[89:90], v[8:9], v[93:94]
	v_fma_f64 v[36:37], v[36:37], v[103:104], -v[79:80]
	v_fma_f64 v[83:84], v[64:65], v[99:100], -v[83:84]
	v_mul_f64 v[64:65], v[64:65], v[101:102]
	v_add_f64 v[6:7], v[30:31], -v[6:7]
	s_mov_b32 s5, 0x3fe6a09e
	v_fma_f64 v[0:1], v[0:1], v[103:104], v[70:71]
	s_waitcnt vmcnt(4)
	v_mul_f64 v[70:71], v[12:13], v[113:114]
	v_fma_f64 v[87:88], v[38:39], v[107:108], -v[87:88]
	v_mul_f64 v[38:39], v[38:39], v[109:110]
	v_fma_f64 v[89:90], v[24:25], v[91:92], -v[89:90]
	v_mul_f64 v[24:25], v[24:25], v[93:94]
	v_fma_f64 v[14:15], v[14:15], v[99:100], v[64:65]
	v_add_f64 v[36:37], v[72:73], -v[36:37]
	v_add_f64 v[0:1], v[28:29], -v[0:1]
	v_fma_f64 v[70:71], v[40:41], v[111:112], -v[70:71]
	v_mul_f64 v[40:41], v[40:41], v[113:114]
	v_fma_f64 v[2:3], v[2:3], v[107:108], v[38:39]
	v_add_f64 v[38:39], v[83:84], -v[87:88]
	v_fma_f64 v[8:9], v[8:9], v[91:92], v[24:25]
	v_add_f64 v[24:25], v[74:75], -v[42:43]
	s_mov_b32 s1, 0xbfe6a09e
	s_mov_b32 s0, s4
	v_add3_u32 v86, v86, v120, v119
	v_fma_f64 v[12:13], v[12:13], v[111:112], v[40:41]
	v_add_f64 v[40:41], v[89:90], -v[70:71]
	v_add_f64 v[2:3], v[14:15], -v[2:3]
	v_fma_f64 v[74:75], v[74:75], 2.0, -v[24:25]
	v_add_f64 v[12:13], v[8:9], -v[12:13]
	s_waitcnt vmcnt(3)
	v_mul_f64 v[34:35], v[18:19], v[44:45]
	v_mul_f64 v[18:19], v[18:19], v[46:47]
	s_waitcnt vmcnt(2)
	v_mul_f64 v[79:80], v[4:5], v[52:53]
	s_waitcnt vmcnt(1)
	v_mul_f64 v[95:96], v[20:21], v[48:49]
	s_waitcnt vmcnt(0) lgkmcnt(0)
	v_mul_f64 v[97:98], v[22:23], v[115:116]
	v_mul_f64 v[4:5], v[4:5], v[54:55]
	;; [unrolled: 1-line block ×4, first 2 shown]
	v_fma_f64 v[34:35], v[66:67], v[46:47], v[34:35]
	v_fma_f64 v[18:19], v[66:67], v[44:45], -v[18:19]
	v_fma_f64 v[46:47], v[62:63], v[50:51], v[95:96]
	v_fma_f64 v[50:51], v[32:33], v[54:55], v[79:80]
	v_fma_f64 v[54:55], v[68:69], v[117:118], v[97:98]
	v_fma_f64 v[22:23], v[68:69], v[115:116], -v[22:23]
	v_fma_f64 v[20:21], v[62:63], v[48:49], -v[20:21]
	;; [unrolled: 1-line block ×3, first 2 shown]
	v_add_f64 v[32:33], v[81:82], -v[58:59]
	v_add_f64 v[34:35], v[16:17], -v[34:35]
	;; [unrolled: 1-line block ×6, first 2 shown]
	v_add_f64 v[48:49], v[10:11], v[6:7]
	v_add_f64 v[4:5], v[20:21], -v[4:5]
	v_add_f64 v[58:59], v[24:25], -v[32:33]
	v_add_f64 v[50:51], v[38:39], v[34:35]
	v_add_f64 v[66:67], v[18:19], -v[2:3]
	v_add_f64 v[62:63], v[40:41], -v[42:43]
	;; [unrolled: 1-line block ×3, first 2 shown]
	v_add_f64 v[52:53], v[0:1], v[22:23]
	v_fma_f64 v[6:7], v[30:31], 2.0, -v[6:7]
	v_add_f64 v[54:55], v[12:13], v[4:5]
	v_fma_f64 v[16:17], v[16:17], 2.0, -v[34:35]
	v_fma_f64 v[2:3], v[14:15], 2.0, -v[2:3]
	;; [unrolled: 1-line block ×4, first 2 shown]
	v_fma_f64 v[79:80], v[64:65], s[4:5], v[62:63]
	v_fma_f64 v[28:29], v[76:77], 2.0, -v[44:45]
	v_fma_f64 v[44:45], v[8:9], 2.0, -v[12:13]
	;; [unrolled: 1-line block ×5, first 2 shown]
	v_fma_f64 v[70:71], v[52:53], s[4:5], v[54:55]
	v_fma_f64 v[87:88], v[58:59], s[4:5], v[66:67]
	v_fma_f64 v[30:31], v[89:90], 2.0, -v[40:41]
	v_fma_f64 v[79:80], v[52:53], s[0:1], v[79:80]
	v_fma_f64 v[26:27], v[60:61], 2.0, -v[18:19]
	v_fma_f64 v[46:47], v[121:122], 2.0, -v[10:11]
	;; [unrolled: 1-line block ×3, first 2 shown]
	v_add_f64 v[60:61], v[74:75], -v[6:7]
	v_add_f64 v[72:73], v[16:17], -v[2:3]
	;; [unrolled: 1-line block ×4, first 2 shown]
	v_fma_f64 v[34:35], v[34:35], 2.0, -v[50:51]
	v_fma_f64 v[8:9], v[10:11], 2.0, -v[48:49]
	v_fma_f64 v[10:11], v[0:1], 2.0, -v[52:53]
	v_fma_f64 v[52:53], v[12:13], 2.0, -v[54:55]
	v_fma_f64 v[68:69], v[48:49], s[4:5], v[50:51]
	v_fma_f64 v[38:39], v[83:84], 2.0, -v[38:39]
	v_fma_f64 v[87:88], v[48:49], s[0:1], v[87:88]
	v_add_f64 v[76:77], v[30:31], -v[4:5]
	v_add_f64 v[28:29], v[20:21], -v[28:29]
	v_add_f64 v[48:49], v[60:61], v[72:73]
	v_add_f64 v[89:90], v[81:82], v[22:23]
	v_fma_f64 v[0:1], v[24:25], 2.0, -v[58:59]
	v_fma_f64 v[4:5], v[8:9], s[0:1], v[34:35]
	v_fma_f64 v[40:41], v[40:41], 2.0, -v[62:63]
	v_fma_f64 v[6:7], v[36:37], 2.0, -v[64:65]
	v_fma_f64 v[12:13], v[10:11], s[0:1], v[52:53]
	v_fma_f64 v[68:69], v[58:59], s[4:5], v[68:69]
	;; [unrolled: 1-line block ×3, first 2 shown]
	v_add_f64 v[38:39], v[26:27], -v[38:39]
	v_add_f64 v[32:33], v[46:47], -v[32:33]
	v_fma_f64 v[36:37], v[18:19], 2.0, -v[66:67]
	v_add_f64 v[83:84], v[76:77], -v[28:29]
	v_fma_f64 v[18:19], v[89:90], s[4:5], v[48:49]
	v_fma_f64 v[58:59], v[0:1], s[4:5], v[4:5]
	;; [unrolled: 1-line block ×5, first 2 shown]
	v_add_f64 v[91:92], v[38:39], -v[32:33]
	v_fma_f64 v[12:13], v[0:1], s[0:1], v[36:37]
	v_fma_f64 v[97:98], v[16:17], 2.0, -v[72:73]
	v_fma_f64 v[32:33], v[46:47], 2.0, -v[32:33]
	v_fma_f64 v[6:7], v[83:84], s[4:5], v[18:19]
	v_fma_f64 v[64:65], v[10:11], s[0:1], v[64:65]
	;; [unrolled: 1-line block ×7, first 2 shown]
	v_fma_f64 v[22:23], v[42:43], 2.0, -v[22:23]
	v_fma_f64 v[99:100], v[26:27], 2.0, -v[38:39]
	;; [unrolled: 1-line block ×7, first 2 shown]
	v_add_f64 v[50:51], v[97:98], -v[32:33]
	v_fma_f64 v[32:33], v[62:63], 2.0, -v[79:80]
	v_fma_f64 v[62:63], v[66:67], 2.0, -v[87:88]
	v_fma_f64 v[18:19], v[64:65], s[6:7], v[18:19]
	v_fma_f64 v[46:47], v[30:31], 2.0, -v[76:77]
	v_fma_f64 v[0:1], v[70:71], s[8:9], v[14:15]
	v_fma_f64 v[4:5], v[89:90], s[0:1], v[24:25]
	v_fma_f64 v[10:11], v[68:69], 2.0, -v[2:3]
	v_fma_f64 v[14:15], v[48:49], 2.0, -v[6:7]
	v_fma_f64 v[24:25], v[64:65], s[2:3], v[95:96]
	v_add_f64 v[60:61], v[99:100], -v[26:27]
	v_add_f64 v[68:69], v[44:45], -v[20:21]
	v_fma_f64 v[30:31], v[28:29], s[8:9], v[42:43]
	v_fma_f64 v[48:49], v[72:73], 2.0, -v[48:49]
	v_fma_f64 v[66:67], v[81:82], 2.0, -v[89:90]
	v_fma_f64 v[70:71], v[32:33], s[8:9], v[62:63]
	v_add_f64 v[54:55], v[46:47], -v[22:23]
	v_fma_f64 v[22:23], v[58:59], 2.0, -v[18:19]
	v_fma_f64 v[58:59], v[34:35], 2.0, -v[58:59]
	v_fma_f64 v[52:53], v[52:53], 2.0, -v[93:94]
	v_fma_f64 v[16:17], v[93:94], s[12:13], v[24:25]
	v_add_f64 v[24:25], v[60:61], -v[68:69]
	v_fma_f64 v[30:31], v[32:33], s[6:7], v[30:31]
	v_fma_f64 v[72:73], v[76:77], 2.0, -v[83:84]
	v_fma_f64 v[74:75], v[66:67], s[0:1], v[48:49]
	v_fma_f64 v[76:77], v[38:39], 2.0, -v[91:92]
	v_fma_f64 v[64:65], v[40:41], 2.0, -v[64:65]
	;; [unrolled: 1-line block ×3, first 2 shown]
	v_fma_f64 v[28:29], v[28:29], s[12:13], v[70:71]
	v_fma_f64 v[70:71], v[52:53], s[12:13], v[58:59]
	v_fma_f64 v[32:33], v[60:61], 2.0, -v[24:25]
	v_fma_f64 v[38:39], v[42:43], 2.0, -v[30:31]
	v_fma_f64 v[42:43], v[72:73], s[4:5], v[74:75]
	v_fma_f64 v[40:41], v[72:73], s[0:1], v[76:77]
	v_fma_f64 v[74:75], v[97:98], 2.0, -v[50:51]
	v_fma_f64 v[72:73], v[64:65], s[12:13], v[79:80]
	v_fma_f64 v[68:69], v[44:45], 2.0, -v[68:69]
	v_fma_f64 v[36:37], v[62:63], 2.0, -v[28:29]
	;; [unrolled: 1-line block ×4, first 2 shown]
	v_fma_f64 v[46:47], v[64:65], s[2:3], v[70:71]
	v_add_f64 v[26:27], v[50:51], v[54:55]
	v_fma_f64 v[40:41], v[66:67], s[0:1], v[40:41]
	v_fma_f64 v[44:45], v[52:53], s[8:9], v[72:73]
	v_add_f64 v[54:55], v[74:75], -v[68:69]
	v_mad_u64_u32 v[66:67], s[0:1], s20, v78, 0
	v_add_f64 v[52:53], v[62:63], -v[60:61]
	v_fma_f64 v[60:61], v[58:59], 2.0, -v[46:47]
	v_mov_b32_e32 v58, v67
	v_mad_u64_u32 v[67:68], s[0:1], s21, v78, v[58:59]
	v_lshlrev_b64 v[68:69], 4, v[85:86]
	v_fma_f64 v[64:65], v[74:75], 2.0, -v[54:55]
	v_mov_b32_e32 v70, s11
	v_fma_f64 v[62:63], v[62:63], 2.0, -v[52:53]
	v_add_co_u32_e32 v71, vcc, s10, v68
	v_addc_co_u32_e32 v70, vcc, v70, v69, vcc
	v_add_u32_e32 v72, 11, v78
	v_mad_u64_u32 v[68:69], s[0:1], s20, v72, 0
	v_add_co_u32_e32 v71, vcc, v71, v56
	v_addc_co_u32_e32 v70, vcc, v70, v57, vcc
	v_lshlrev_b64 v[56:57], 4, v[66:67]
	v_mov_b32_e32 v66, v69
	v_add_co_u32_e32 v56, vcc, v71, v56
	v_addc_co_u32_e32 v57, vcc, v70, v57, vcc
	v_mad_u64_u32 v[66:67], s[0:1], s21, v72, v[66:67]
	global_store_dwordx4 v[56:57], v[62:65], off
	v_fma_f64 v[58:59], v[79:80], 2.0, -v[44:45]
	v_add_u32_e32 v64, 22, v78
	v_mad_u64_u32 v[62:63], s[0:1], s20, v64, 0
	v_mov_b32_e32 v69, v66
	v_fma_f64 v[34:35], v[50:51], 2.0, -v[26:27]
	v_fma_f64 v[50:51], v[48:49], 2.0, -v[42:43]
	;; [unrolled: 1-line block ×3, first 2 shown]
	v_lshlrev_b64 v[56:57], 4, v[68:69]
	v_mad_u64_u32 v[63:64], s[0:1], s21, v64, v[63:64]
	v_add_co_u32_e32 v56, vcc, v71, v56
	v_addc_co_u32_e32 v57, vcc, v70, v57, vcc
	v_add_u32_e32 v66, 33, v78
	v_mad_u64_u32 v[64:65], s[0:1], s20, v66, 0
	global_store_dwordx4 v[56:57], v[58:61], off
	v_lshlrev_b64 v[56:57], 4, v[62:63]
	v_mov_b32_e32 v58, v65
	v_add_co_u32_e32 v56, vcc, v71, v56
	v_addc_co_u32_e32 v57, vcc, v70, v57, vcc
	global_store_dwordx4 v[56:57], v[48:51], off
	v_add_u32_e32 v56, 44, v78
	v_mad_u64_u32 v[58:59], s[0:1], s21, v66, v[58:59]
	v_mad_u64_u32 v[50:51], s[0:1], s20, v56, 0
	v_mov_b32_e32 v65, v58
	v_lshlrev_b64 v[48:49], 4, v[64:65]
	v_mad_u64_u32 v[56:57], s[0:1], s21, v56, v[51:52]
	v_add_co_u32_e32 v48, vcc, v71, v48
	v_add_u32_e32 v59, 55, v78
	v_addc_co_u32_e32 v49, vcc, v70, v49, vcc
	v_mad_u64_u32 v[57:58], s[0:1], s20, v59, 0
	v_mov_b32_e32 v51, v56
	global_store_dwordx4 v[48:49], v[36:39], off
	v_fma_f64 v[20:21], v[95:96], 2.0, -v[16:17]
	v_lshlrev_b64 v[36:37], 4, v[50:51]
	v_mov_b32_e32 v38, v58
	v_add_co_u32_e32 v36, vcc, v71, v36
	v_addc_co_u32_e32 v37, vcc, v70, v37, vcc
	v_mad_u64_u32 v[38:39], s[0:1], s21, v59, v[38:39]
	global_store_dwordx4 v[36:37], v[32:35], off
	v_add_u32_e32 v36, 0x42, v78
	v_mad_u64_u32 v[34:35], s[0:1], s20, v36, 0
	v_mov_b32_e32 v58, v38
	v_fma_f64 v[12:13], v[91:92], 2.0, -v[4:5]
	v_lshlrev_b64 v[32:33], 4, v[57:58]
	v_mad_u64_u32 v[35:36], s[0:1], s21, v36, v[35:36]
	v_add_co_u32_e32 v32, vcc, v71, v32
	v_addc_co_u32_e32 v33, vcc, v70, v33, vcc
	v_add_u32_e32 v38, 0x4d, v78
	v_mad_u64_u32 v[36:37], s[0:1], s20, v38, 0
	global_store_dwordx4 v[32:33], v[20:23], off
	v_fma_f64 v[8:9], v[87:88], 2.0, -v[0:1]
	v_lshlrev_b64 v[20:21], 4, v[34:35]
	v_mov_b32_e32 v22, v37
	v_add_co_u32_e32 v20, vcc, v71, v20
	v_addc_co_u32_e32 v21, vcc, v70, v21, vcc
	global_store_dwordx4 v[20:21], v[12:15], off
	v_add_u32_e32 v20, 0x58, v78
	v_mad_u64_u32 v[22:23], s[0:1], s21, v38, v[22:23]
	v_mad_u64_u32 v[14:15], s[0:1], s20, v20, 0
	v_mov_b32_e32 v37, v22
	v_add_u32_e32 v23, 0x63, v78
	v_mad_u64_u32 v[20:21], s[0:1], s21, v20, v[15:16]
	v_lshlrev_b64 v[12:13], 4, v[36:37]
	v_mad_u64_u32 v[21:22], s[0:1], s20, v23, 0
	v_add_co_u32_e32 v12, vcc, v71, v12
	v_addc_co_u32_e32 v13, vcc, v70, v13, vcc
	global_store_dwordx4 v[12:13], v[8:11], off
	v_add_u32_e32 v12, 0x6e, v78
	v_mov_b32_e32 v10, v22
	v_mad_u64_u32 v[10:11], s[0:1], s21, v23, v[10:11]
	v_mov_b32_e32 v15, v20
	v_lshlrev_b64 v[8:9], 4, v[14:15]
	v_mov_b32_e32 v22, v10
	v_mad_u64_u32 v[10:11], s[0:1], s20, v12, 0
	v_add_co_u32_e32 v8, vcc, v71, v8
	v_addc_co_u32_e32 v9, vcc, v70, v9, vcc
	v_mad_u64_u32 v[11:12], s[0:1], s21, v12, v[11:12]
	v_add_u32_e32 v14, 0x79, v78
	global_store_dwordx4 v[8:9], v[52:55], off
	v_lshlrev_b64 v[8:9], 4, v[21:22]
	v_mad_u64_u32 v[12:13], s[0:1], s20, v14, 0
	v_add_co_u32_e32 v8, vcc, v71, v8
	v_addc_co_u32_e32 v9, vcc, v70, v9, vcc
	global_store_dwordx4 v[8:9], v[44:47], off
	v_lshlrev_b64 v[8:9], 4, v[10:11]
	v_mov_b32_e32 v10, v13
	v_mad_u64_u32 v[10:11], s[0:1], s21, v14, v[10:11]
	v_add_co_u32_e32 v8, vcc, v71, v8
	v_addc_co_u32_e32 v9, vcc, v70, v9, vcc
	v_mov_b32_e32 v13, v10
	global_store_dwordx4 v[8:9], v[40:43], off
	v_lshlrev_b64 v[8:9], 4, v[12:13]
	v_add_u32_e32 v12, 0x84, v78
	v_mad_u64_u32 v[10:11], s[0:1], s20, v12, 0
	v_add_u32_e32 v14, 0x8f, v78
	v_add_co_u32_e32 v8, vcc, v71, v8
	v_mad_u64_u32 v[11:12], s[0:1], s21, v12, v[11:12]
	v_mad_u64_u32 v[12:13], s[0:1], s20, v14, 0
	v_addc_co_u32_e32 v9, vcc, v70, v9, vcc
	global_store_dwordx4 v[8:9], v[28:31], off
	v_lshlrev_b64 v[8:9], 4, v[10:11]
	v_mov_b32_e32 v10, v13
	v_mad_u64_u32 v[10:11], s[0:1], s21, v14, v[10:11]
	v_add_co_u32_e32 v8, vcc, v71, v8
	v_addc_co_u32_e32 v9, vcc, v70, v9, vcc
	v_mov_b32_e32 v13, v10
	global_store_dwordx4 v[8:9], v[24:27], off
	v_lshlrev_b64 v[8:9], 4, v[12:13]
	v_add_u32_e32 v12, 0x9a, v78
	v_mad_u64_u32 v[10:11], s[0:1], s20, v12, 0
	v_add_u32_e32 v14, 0xa5, v78
	v_add_co_u32_e32 v8, vcc, v71, v8
	v_mad_u64_u32 v[11:12], s[0:1], s21, v12, v[11:12]
	v_mad_u64_u32 v[12:13], s[0:1], s20, v14, 0
	v_addc_co_u32_e32 v9, vcc, v70, v9, vcc
	global_store_dwordx4 v[8:9], v[16:19], off
	v_lshlrev_b64 v[8:9], 4, v[10:11]
	v_mov_b32_e32 v10, v13
	v_mad_u64_u32 v[10:11], s[0:1], s21, v14, v[10:11]
	v_add_co_u32_e32 v8, vcc, v71, v8
	v_addc_co_u32_e32 v9, vcc, v70, v9, vcc
	v_mov_b32_e32 v13, v10
	global_store_dwordx4 v[8:9], v[4:7], off
	s_nop 0
	v_lshlrev_b64 v[4:5], 4, v[12:13]
	v_add_co_u32_e32 v4, vcc, v71, v4
	v_addc_co_u32_e32 v5, vcc, v70, v5, vcc
	global_store_dwordx4 v[4:5], v[0:3], off
.LBB0_19:
	s_endpgm
	.section	.rodata,"a",@progbits
	.p2align	6, 0x0
	.amdhsa_kernel fft_rtc_fwd_len176_factors_11_16_wgs_64_tpt_16_halfLds_dp_op_CI_CI_sbrr_dirReg
		.amdhsa_group_segment_fixed_size 0
		.amdhsa_private_segment_fixed_size 0
		.amdhsa_kernarg_size 104
		.amdhsa_user_sgpr_count 6
		.amdhsa_user_sgpr_private_segment_buffer 1
		.amdhsa_user_sgpr_dispatch_ptr 0
		.amdhsa_user_sgpr_queue_ptr 0
		.amdhsa_user_sgpr_kernarg_segment_ptr 1
		.amdhsa_user_sgpr_dispatch_id 0
		.amdhsa_user_sgpr_flat_scratch_init 0
		.amdhsa_user_sgpr_private_segment_size 0
		.amdhsa_uses_dynamic_stack 0
		.amdhsa_system_sgpr_private_segment_wavefront_offset 0
		.amdhsa_system_sgpr_workgroup_id_x 1
		.amdhsa_system_sgpr_workgroup_id_y 0
		.amdhsa_system_sgpr_workgroup_id_z 0
		.amdhsa_system_sgpr_workgroup_info 0
		.amdhsa_system_vgpr_workitem_id 0
		.amdhsa_next_free_vgpr 123
		.amdhsa_next_free_sgpr 42
		.amdhsa_reserve_vcc 1
		.amdhsa_reserve_flat_scratch 0
		.amdhsa_float_round_mode_32 0
		.amdhsa_float_round_mode_16_64 0
		.amdhsa_float_denorm_mode_32 3
		.amdhsa_float_denorm_mode_16_64 3
		.amdhsa_dx10_clamp 1
		.amdhsa_ieee_mode 1
		.amdhsa_fp16_overflow 0
		.amdhsa_exception_fp_ieee_invalid_op 0
		.amdhsa_exception_fp_denorm_src 0
		.amdhsa_exception_fp_ieee_div_zero 0
		.amdhsa_exception_fp_ieee_overflow 0
		.amdhsa_exception_fp_ieee_underflow 0
		.amdhsa_exception_fp_ieee_inexact 0
		.amdhsa_exception_int_div_zero 0
	.end_amdhsa_kernel
	.text
.Lfunc_end0:
	.size	fft_rtc_fwd_len176_factors_11_16_wgs_64_tpt_16_halfLds_dp_op_CI_CI_sbrr_dirReg, .Lfunc_end0-fft_rtc_fwd_len176_factors_11_16_wgs_64_tpt_16_halfLds_dp_op_CI_CI_sbrr_dirReg
                                        ; -- End function
	.section	.AMDGPU.csdata,"",@progbits
; Kernel info:
; codeLenInByte = 7860
; NumSgprs: 46
; NumVgprs: 123
; ScratchSize: 0
; MemoryBound: 1
; FloatMode: 240
; IeeeMode: 1
; LDSByteSize: 0 bytes/workgroup (compile time only)
; SGPRBlocks: 5
; VGPRBlocks: 30
; NumSGPRsForWavesPerEU: 46
; NumVGPRsForWavesPerEU: 123
; Occupancy: 2
; WaveLimiterHint : 1
; COMPUTE_PGM_RSRC2:SCRATCH_EN: 0
; COMPUTE_PGM_RSRC2:USER_SGPR: 6
; COMPUTE_PGM_RSRC2:TRAP_HANDLER: 0
; COMPUTE_PGM_RSRC2:TGID_X_EN: 1
; COMPUTE_PGM_RSRC2:TGID_Y_EN: 0
; COMPUTE_PGM_RSRC2:TGID_Z_EN: 0
; COMPUTE_PGM_RSRC2:TIDIG_COMP_CNT: 0
	.type	__hip_cuid_d4f8458b80cb46b9,@object ; @__hip_cuid_d4f8458b80cb46b9
	.section	.bss,"aw",@nobits
	.globl	__hip_cuid_d4f8458b80cb46b9
__hip_cuid_d4f8458b80cb46b9:
	.byte	0                               ; 0x0
	.size	__hip_cuid_d4f8458b80cb46b9, 1

	.ident	"AMD clang version 19.0.0git (https://github.com/RadeonOpenCompute/llvm-project roc-6.4.0 25133 c7fe45cf4b819c5991fe208aaa96edf142730f1d)"
	.section	".note.GNU-stack","",@progbits
	.addrsig
	.addrsig_sym __hip_cuid_d4f8458b80cb46b9
	.amdgpu_metadata
---
amdhsa.kernels:
  - .args:
      - .actual_access:  read_only
        .address_space:  global
        .offset:         0
        .size:           8
        .value_kind:     global_buffer
      - .offset:         8
        .size:           8
        .value_kind:     by_value
      - .actual_access:  read_only
        .address_space:  global
        .offset:         16
        .size:           8
        .value_kind:     global_buffer
      - .actual_access:  read_only
        .address_space:  global
        .offset:         24
        .size:           8
        .value_kind:     global_buffer
      - .actual_access:  read_only
        .address_space:  global
        .offset:         32
        .size:           8
        .value_kind:     global_buffer
      - .offset:         40
        .size:           8
        .value_kind:     by_value
      - .actual_access:  read_only
        .address_space:  global
        .offset:         48
        .size:           8
        .value_kind:     global_buffer
      - .actual_access:  read_only
        .address_space:  global
        .offset:         56
        .size:           8
        .value_kind:     global_buffer
      - .offset:         64
        .size:           4
        .value_kind:     by_value
      - .actual_access:  read_only
        .address_space:  global
        .offset:         72
        .size:           8
        .value_kind:     global_buffer
      - .actual_access:  read_only
        .address_space:  global
        .offset:         80
        .size:           8
        .value_kind:     global_buffer
      - .actual_access:  read_only
        .address_space:  global
        .offset:         88
        .size:           8
        .value_kind:     global_buffer
      - .actual_access:  write_only
        .address_space:  global
        .offset:         96
        .size:           8
        .value_kind:     global_buffer
    .group_segment_fixed_size: 0
    .kernarg_segment_align: 8
    .kernarg_segment_size: 104
    .language:       OpenCL C
    .language_version:
      - 2
      - 0
    .max_flat_workgroup_size: 64
    .name:           fft_rtc_fwd_len176_factors_11_16_wgs_64_tpt_16_halfLds_dp_op_CI_CI_sbrr_dirReg
    .private_segment_fixed_size: 0
    .sgpr_count:     46
    .sgpr_spill_count: 0
    .symbol:         fft_rtc_fwd_len176_factors_11_16_wgs_64_tpt_16_halfLds_dp_op_CI_CI_sbrr_dirReg.kd
    .uniform_work_group_size: 1
    .uses_dynamic_stack: false
    .vgpr_count:     123
    .vgpr_spill_count: 0
    .wavefront_size: 64
amdhsa.target:   amdgcn-amd-amdhsa--gfx906
amdhsa.version:
  - 1
  - 2
...

	.end_amdgpu_metadata
